;; amdgpu-corpus repo=ROCm/rocFFT kind=compiled arch=gfx1201 opt=O3
	.text
	.amdgcn_target "amdgcn-amd-amdhsa--gfx1201"
	.amdhsa_code_object_version 6
	.protected	bluestein_single_fwd_len343_dim1_dp_op_CI_CI ; -- Begin function bluestein_single_fwd_len343_dim1_dp_op_CI_CI
	.globl	bluestein_single_fwd_len343_dim1_dp_op_CI_CI
	.p2align	8
	.type	bluestein_single_fwd_len343_dim1_dp_op_CI_CI,@function
bluestein_single_fwd_len343_dim1_dp_op_CI_CI: ; @bluestein_single_fwd_len343_dim1_dp_op_CI_CI
; %bb.0:
	s_load_b128 s[16:19], s[0:1], 0x28
	v_mul_u32_u24_e32 v1, 0x53a, v0
	s_mov_b32 s2, exec_lo
	s_delay_alu instid0(VALU_DEP_1) | instskip(NEXT) | instid1(VALU_DEP_1)
	v_lshrrev_b32_e32 v1, 16, v1
	v_mad_co_u64_u32 v[76:77], null, ttmp9, 5, v[1:2]
	v_mov_b32_e32 v77, 0
	s_wait_kmcnt 0x0
	s_delay_alu instid0(VALU_DEP_1)
	v_cmpx_gt_u64_e64 s[16:17], v[76:77]
	s_cbranch_execz .LBB0_2
; %bb.1:
	s_clause 0x1
	s_load_b128 s[4:7], s[0:1], 0x18
	s_load_b128 s[8:11], s[0:1], 0x0
	v_mul_lo_u16 v1, v1, 49
	v_mul_hi_u32 v75, 0xcccccccd, v76
	s_mov_b32 s16, 0x36b3c0b5
	s_mov_b32 s17, 0x3fac98ee
	;; [unrolled: 1-line block ×3, first 2 shown]
	v_sub_nc_u16 v28, v0, v1
	s_mov_b32 s20, 0x5476071b
	s_mov_b32 s25, 0x3fd5d0dc
	;; [unrolled: 1-line block ×4, first 2 shown]
	v_and_b32_e32 v77, 0xffff, v28
	s_mov_b32 s23, 0xbfe77f67
	s_mov_b32 s27, 0xbfd5d0dc
	;; [unrolled: 1-line block ×4, first 2 shown]
	v_lshlrev_b32_e32 v79, 4, v77
	s_mov_b32 s29, 0x3fdc38aa
	s_mov_b32 s28, 0x37c3f68c
	s_wait_kmcnt 0x0
	s_load_b128 s[12:15], s[4:5], 0x0
	s_load_b64 s[0:1], s[0:1], 0x38
	s_wait_kmcnt 0x0
	v_mad_co_u64_u32 v[0:1], null, s14, v76, 0
	v_mad_co_u64_u32 v[2:3], null, s12, v77, 0
	s_mul_u64 s[2:3], s[12:13], 0x310
	s_mov_b32 s14, 0xe976ee23
	s_delay_alu instid0(VALU_DEP_1) | instskip(SKIP_1) | instid1(VALU_DEP_1)
	v_mad_co_u64_u32 v[4:5], null, s15, v76, v[1:2]
	s_mov_b32 s15, 0xbfe11646
	v_mad_co_u64_u32 v[5:6], null, s13, v77, v[3:4]
	v_mov_b32_e32 v1, v4
	s_mov_b32 s12, 0x37e14327
	s_mov_b32 s13, 0x3fe948f6
	s_delay_alu instid0(VALU_DEP_1) | instskip(NEXT) | instid1(VALU_DEP_3)
	v_lshlrev_b64_e32 v[0:1], 4, v[0:1]
	v_mov_b32_e32 v3, v5
	s_delay_alu instid0(VALU_DEP_2) | instskip(NEXT) | instid1(VALU_DEP_2)
	v_add_co_u32 v0, vcc_lo, s18, v0
	v_lshlrev_b64_e32 v[2:3], 4, v[2:3]
	s_delay_alu instid0(VALU_DEP_4) | instskip(SKIP_2) | instid1(VALU_DEP_2)
	v_add_co_ci_u32_e32 v1, vcc_lo, s19, v1, vcc_lo
	s_mov_b32 s18, 0xaaaaaaaa
	s_mov_b32 s19, 0xbff2aaaa
	v_add_co_u32 v16, vcc_lo, v0, v2
	s_wait_alu 0xfffd
	v_add_co_ci_u32_e32 v17, vcc_lo, v1, v3, vcc_lo
	s_clause 0x1
	global_load_b128 v[0:3], v79, s[8:9]
	global_load_b128 v[4:7], v79, s[8:9] offset:784
	v_add_co_u32 v18, vcc_lo, v16, s2
	s_wait_alu 0xfffd
	v_add_co_ci_u32_e32 v19, vcc_lo, s3, v17, vcc_lo
	s_clause 0x1
	global_load_b128 v[8:11], v79, s[8:9] offset:1568
	global_load_b128 v[12:15], v79, s[8:9] offset:2352
	v_add_co_u32 v20, vcc_lo, v18, s2
	s_wait_alu 0xfffd
	v_add_co_ci_u32_e32 v21, vcc_lo, s3, v19, vcc_lo
	global_load_b128 v[29:32], v[16:17], off
	v_add_co_u32 v22, vcc_lo, v20, s2
	s_wait_alu 0xfffd
	v_add_co_ci_u32_e32 v23, vcc_lo, s3, v21, vcc_lo
	s_clause 0x1
	global_load_b128 v[33:36], v[18:19], off
	global_load_b128 v[37:40], v[20:21], off
	v_add_co_u32 v16, vcc_lo, v22, s2
	s_wait_alu 0xfffd
	v_add_co_ci_u32_e32 v17, vcc_lo, s3, v23, vcc_lo
	s_clause 0x1
	global_load_b128 v[41:44], v[22:23], off
	global_load_b128 v[45:48], v[16:17], off
	v_add_co_u32 v24, vcc_lo, v16, s2
	s_wait_alu 0xfffd
	v_add_co_ci_u32_e32 v25, vcc_lo, s3, v17, vcc_lo
	s_delay_alu instid0(VALU_DEP_2) | instskip(SKIP_1) | instid1(VALU_DEP_2)
	v_add_co_u32 v53, vcc_lo, v24, s2
	s_wait_alu 0xfffd
	v_add_co_ci_u32_e32 v54, vcc_lo, s3, v25, vcc_lo
	s_clause 0x1
	global_load_b128 v[20:23], v79, s[8:9] offset:3136
	global_load_b128 v[16:19], v79, s[8:9] offset:3920
	global_load_b128 v[49:52], v[24:25], off
	global_load_b128 v[24:27], v79, s[8:9] offset:4704
	global_load_b128 v[53:56], v[53:54], off
	s_load_b128 s[4:7], s[6:7], 0x0
	s_mov_b32 s2, 0x429ad128
	s_mov_b32 s3, 0xbfebfeb5
	s_wait_alu 0xfffe
	s_mov_b32 s30, s2
	s_wait_loadcnt 0x9
	v_mul_f64_e32 v[57:58], v[31:32], v[2:3]
	v_mul_f64_e32 v[59:60], v[29:30], v[2:3]
	s_wait_loadcnt 0x8
	v_mul_f64_e32 v[61:62], v[35:36], v[6:7]
	v_mul_f64_e32 v[63:64], v[33:34], v[6:7]
	;; [unrolled: 3-line block ×7, first 2 shown]
	v_fma_f64 v[29:30], v[29:30], v[0:1], v[57:58]
	v_fma_f64 v[31:32], v[31:32], v[0:1], -v[59:60]
	v_fma_f64 v[33:34], v[33:34], v[4:5], v[61:62]
	v_fma_f64 v[35:36], v[35:36], v[4:5], -v[63:64]
	;; [unrolled: 2-line block ×7, first 2 shown]
	v_lshrrev_b32_e32 v49, 2, v75
	s_delay_alu instid0(VALU_DEP_1) | instskip(NEXT) | instid1(VALU_DEP_1)
	v_lshl_add_u32 v49, v49, 2, v49
	v_sub_nc_u32_e32 v49, v76, v49
	s_delay_alu instid0(VALU_DEP_1) | instskip(NEXT) | instid1(VALU_DEP_1)
	v_mul_u32_u24_e32 v49, 0x157, v49
	v_lshlrev_b32_e32 v52, 4, v49
	s_delay_alu instid0(VALU_DEP_1)
	v_add_nc_u32_e32 v78, v79, v52
	ds_store_b128 v78, v[29:32]
	ds_store_b128 v78, v[33:36] offset:784
	ds_store_b128 v78, v[37:40] offset:1568
	;; [unrolled: 1-line block ×6, first 2 shown]
	global_wb scope:SCOPE_SE
	s_wait_dscnt 0x0
	s_wait_kmcnt 0x0
	s_barrier_signal -1
	s_barrier_wait -1
	global_inv scope:SCOPE_SE
	ds_load_b128 v[29:32], v78 offset:784
	ds_load_b128 v[33:36], v78 offset:4704
	;; [unrolled: 1-line block ×6, first 2 shown]
	s_wait_dscnt 0x4
	v_add_f64_e32 v[49:50], v[29:30], v[33:34]
	v_add_f64_e32 v[57:58], v[31:32], v[35:36]
	s_wait_dscnt 0x2
	v_add_f64_e32 v[59:60], v[41:42], v[37:38]
	v_add_f64_e32 v[61:62], v[43:44], v[39:40]
	v_add_f64_e64 v[37:38], v[41:42], -v[37:38]
	v_add_f64_e64 v[39:40], v[43:44], -v[39:40]
	s_wait_dscnt 0x0
	v_add_f64_e32 v[41:42], v[45:46], v[53:54]
	v_add_f64_e32 v[43:44], v[47:48], v[55:56]
	v_add_f64_e64 v[45:46], v[53:54], -v[45:46]
	v_add_f64_e64 v[47:48], v[55:56], -v[47:48]
	;; [unrolled: 1-line block ×4, first 2 shown]
	v_add_f64_e32 v[29:30], v[59:60], v[49:50]
	v_add_f64_e32 v[31:32], v[61:62], v[57:58]
	v_add_f64_e64 v[53:54], v[49:50], -v[41:42]
	v_add_f64_e64 v[55:56], v[57:58], -v[43:44]
	v_add_f64_e64 v[63:64], v[45:46], -v[37:38]
	v_add_f64_e64 v[65:66], v[47:48], -v[39:40]
	v_add_f64_e64 v[67:68], v[37:38], -v[33:34]
	v_add_f64_e64 v[69:70], v[39:40], -v[35:36]
	v_add_f64_e32 v[37:38], v[45:46], v[37:38]
	v_add_f64_e32 v[39:40], v[47:48], v[39:40]
	v_add_f64_e64 v[45:46], v[33:34], -v[45:46]
	v_add_f64_e64 v[47:48], v[35:36], -v[47:48]
	;; [unrolled: 1-line block ×4, first 2 shown]
	v_add_f64_e32 v[71:72], v[41:42], v[29:30]
	v_add_f64_e32 v[73:74], v[43:44], v[31:32]
	v_add_f64_e64 v[41:42], v[41:42], -v[59:60]
	v_add_f64_e64 v[43:44], v[43:44], -v[61:62]
	ds_load_b128 v[29:32], v78
	v_mul_f64_e32 v[53:54], s[12:13], v[53:54]
	v_mul_f64_e32 v[55:56], s[12:13], v[55:56]
	v_mul_f64_e32 v[63:64], s[14:15], v[63:64]
	v_mul_f64_e32 v[65:66], s[14:15], v[65:66]
	v_mul_f64_e32 v[80:81], s[2:3], v[67:68]
	v_mul_f64_e32 v[82:83], s[2:3], v[69:70]
	v_add_f64_e32 v[33:34], v[37:38], v[33:34]
	v_add_f64_e32 v[35:36], v[39:40], v[35:36]
	global_wb scope:SCOPE_SE
	s_wait_dscnt 0x0
	s_barrier_signal -1
	s_barrier_wait -1
	global_inv scope:SCOPE_SE
	v_add_f64_e32 v[29:30], v[29:30], v[71:72]
	v_add_f64_e32 v[31:32], v[31:32], v[73:74]
	v_mul_f64_e32 v[59:60], s[16:17], v[41:42]
	v_mul_f64_e32 v[61:62], s[16:17], v[43:44]
	v_fma_f64 v[37:38], v[41:42], s[16:17], v[53:54]
	v_fma_f64 v[39:40], v[43:44], s[16:17], v[55:56]
	v_fma_f64 v[41:42], v[45:46], s[24:25], v[63:64]
	v_fma_f64 v[43:44], v[47:48], s[24:25], v[65:66]
	v_fma_f64 v[63:64], v[67:68], s[30:31], -v[63:64]
	v_fma_f64 v[65:66], v[69:70], s[30:31], -v[65:66]
	v_fma_f64 v[45:46], v[45:46], s[26:27], v[80:81]
	v_fma_f64 v[47:48], v[47:48], s[26:27], v[82:83]
	v_fma_f64 v[53:54], v[49:50], s[22:23], -v[53:54]
	v_fma_f64 v[55:56], v[57:58], s[22:23], -v[55:56]
	v_fma_f64 v[67:68], v[71:72], s[18:19], v[29:30]
	v_fma_f64 v[69:70], v[73:74], s[18:19], v[31:32]
	;; [unrolled: 4-line block ×3, first 2 shown]
	v_fma_f64 v[63:64], v[33:34], s[28:29], v[63:64]
	v_fma_f64 v[65:66], v[35:36], s[28:29], v[65:66]
	;; [unrolled: 1-line block ×4, first 2 shown]
	v_and_b32_e32 v33, 0xff, v28
	s_delay_alu instid0(VALU_DEP_1) | instskip(NEXT) | instid1(VALU_DEP_1)
	v_mul_lo_u16 v33, v33, 37
	v_lshrrev_b16 v33, 8, v33
	s_delay_alu instid0(VALU_DEP_1) | instskip(NEXT) | instid1(VALU_DEP_1)
	v_sub_nc_u16 v34, v28, v33
	v_lshrrev_b16 v34, 1, v34
	v_add_f64_e32 v[80:81], v[37:38], v[67:68]
	v_add_f64_e32 v[82:83], v[39:40], v[69:70]
	;; [unrolled: 1-line block ×6, first 2 shown]
	v_and_b32_e32 v34, 0x7f, v34
	s_delay_alu instid0(VALU_DEP_1) | instskip(NEXT) | instid1(VALU_DEP_1)
	v_add_nc_u16 v49, v34, v33
	v_lshrrev_b16 v75, 2, v49
	s_delay_alu instid0(VALU_DEP_1) | instskip(NEXT) | instid1(VALU_DEP_1)
	v_mul_lo_u16 v49, v75, 7
	v_sub_nc_u16 v49, v28, v49
	v_mul_lo_u16 v28, v28, 7
	s_delay_alu instid0(VALU_DEP_2) | instskip(NEXT) | instid1(VALU_DEP_2)
	v_and_b32_e32 v111, 0xff, v49
	v_and_b32_e32 v28, 0xffff, v28
	s_delay_alu instid0(VALU_DEP_2)
	v_mul_u32_u24_e32 v49, 6, v111
	v_add_f64_e32 v[33:34], v[80:81], v[61:62]
	v_add_f64_e64 v[35:36], v[82:83], -v[59:60]
	v_add_f64_e32 v[37:38], v[53:54], v[73:74]
	v_add_f64_e64 v[39:40], v[55:56], -v[71:72]
	v_add_f64_e64 v[41:42], v[45:46], -v[65:66]
	v_add_f64_e32 v[43:44], v[63:64], v[47:48]
	v_add_f64_e32 v[45:46], v[45:46], v[65:66]
	v_add_f64_e64 v[47:48], v[47:48], -v[63:64]
	v_add_f64_e64 v[53:54], v[53:54], -v[73:74]
	v_add_f64_e32 v[55:56], v[71:72], v[55:56]
	v_add_f64_e64 v[57:58], v[80:81], -v[61:62]
	v_add_f64_e32 v[59:60], v[59:60], v[82:83]
	v_lshl_add_u32 v80, v28, 4, v52
	v_lshlrev_b32_e32 v61, 4, v49
	ds_store_b128 v80, v[29:32]
	ds_store_b128 v80, v[33:36] offset:16
	ds_store_b128 v80, v[37:40] offset:32
	;; [unrolled: 1-line block ×6, first 2 shown]
	global_wb scope:SCOPE_SE
	s_wait_dscnt 0x0
	s_barrier_signal -1
	s_barrier_wait -1
	global_inv scope:SCOPE_SE
	s_clause 0x5
	global_load_b128 v[32:35], v61, s[10:11]
	global_load_b128 v[28:31], v61, s[10:11] offset:16
	global_load_b128 v[36:39], v61, s[10:11] offset:80
	;; [unrolled: 1-line block ×5, first 2 shown]
	ds_load_b128 v[53:56], v78 offset:784
	ds_load_b128 v[57:60], v78 offset:1568
	;; [unrolled: 1-line block ×6, first 2 shown]
	s_wait_loadcnt_dscnt 0x505
	v_mul_f64_e32 v[73:74], v[55:56], v[34:35]
	v_mul_f64_e32 v[85:86], v[53:54], v[34:35]
	s_wait_loadcnt_dscnt 0x404
	v_mul_f64_e32 v[87:88], v[59:60], v[30:31]
	v_mul_f64_e32 v[89:90], v[57:58], v[30:31]
	;; [unrolled: 3-line block ×6, first 2 shown]
	v_fma_f64 v[53:54], v[53:54], v[32:33], -v[73:74]
	v_fma_f64 v[55:56], v[55:56], v[32:33], v[85:86]
	v_fma_f64 v[57:58], v[57:58], v[28:29], -v[87:88]
	v_fma_f64 v[59:60], v[59:60], v[28:29], v[89:90]
	;; [unrolled: 2-line block ×6, first 2 shown]
	v_add_f64_e32 v[83:84], v[53:54], v[61:62]
	v_add_f64_e32 v[85:86], v[55:56], v[63:64]
	;; [unrolled: 1-line block ×4, first 2 shown]
	v_add_f64_e64 v[57:58], v[57:58], -v[65:66]
	v_add_f64_e64 v[59:60], v[59:60], -v[67:68]
	v_add_f64_e32 v[65:66], v[69:70], v[73:74]
	v_add_f64_e32 v[67:68], v[71:72], v[81:82]
	v_add_f64_e64 v[69:70], v[73:74], -v[69:70]
	v_add_f64_e64 v[71:72], v[81:82], -v[71:72]
	;; [unrolled: 1-line block ×4, first 2 shown]
	v_add_f64_e32 v[53:54], v[87:88], v[83:84]
	v_add_f64_e32 v[55:56], v[89:90], v[85:86]
	v_add_f64_e64 v[73:74], v[83:84], -v[65:66]
	v_add_f64_e64 v[81:82], v[85:86], -v[67:68]
	;; [unrolled: 1-line block ×6, first 2 shown]
	v_add_f64_e32 v[57:58], v[69:70], v[57:58]
	v_add_f64_e32 v[59:60], v[71:72], v[59:60]
	v_add_f64_e64 v[69:70], v[61:62], -v[69:70]
	v_add_f64_e64 v[71:72], v[63:64], -v[71:72]
	;; [unrolled: 1-line block ×4, first 2 shown]
	v_add_f64_e32 v[99:100], v[65:66], v[53:54]
	v_add_f64_e32 v[101:102], v[67:68], v[55:56]
	v_add_f64_e64 v[65:66], v[65:66], -v[87:88]
	v_add_f64_e64 v[67:68], v[67:68], -v[89:90]
	ds_load_b128 v[53:56], v78
	v_mul_f64_e32 v[73:74], s[12:13], v[73:74]
	v_mul_f64_e32 v[81:82], s[12:13], v[81:82]
	;; [unrolled: 1-line block ×6, first 2 shown]
	v_add_f64_e32 v[57:58], v[57:58], v[61:62]
	v_add_f64_e32 v[59:60], v[59:60], v[63:64]
	global_wb scope:SCOPE_SE
	s_wait_dscnt 0x0
	s_barrier_signal -1
	s_barrier_wait -1
	global_inv scope:SCOPE_SE
	v_add_f64_e32 v[53:54], v[53:54], v[99:100]
	v_add_f64_e32 v[55:56], v[55:56], v[101:102]
	v_mul_f64_e32 v[87:88], s[16:17], v[65:66]
	v_mul_f64_e32 v[89:90], s[16:17], v[67:68]
	v_fma_f64 v[61:62], v[65:66], s[16:17], v[73:74]
	v_fma_f64 v[63:64], v[67:68], s[16:17], v[81:82]
	;; [unrolled: 1-line block ×4, first 2 shown]
	v_fma_f64 v[91:92], v[95:96], s[30:31], -v[91:92]
	v_fma_f64 v[93:94], v[97:98], s[30:31], -v[93:94]
	v_fma_f64 v[69:70], v[69:70], s[26:27], v[103:104]
	v_fma_f64 v[71:72], v[71:72], s[26:27], v[105:106]
	v_fma_f64 v[73:74], v[83:84], s[22:23], -v[73:74]
	v_fma_f64 v[81:82], v[85:86], s[22:23], -v[81:82]
	v_fma_f64 v[95:96], v[99:100], s[18:19], v[53:54]
	v_fma_f64 v[97:98], v[101:102], s[18:19], v[55:56]
	;; [unrolled: 4-line block ×3, first 2 shown]
	v_fma_f64 v[90:91], v[57:58], s[28:29], v[91:92]
	v_fma_f64 v[92:93], v[59:60], s[28:29], v[93:94]
	;; [unrolled: 1-line block ×4, first 2 shown]
	v_add_f64_e32 v[105:106], v[61:62], v[95:96]
	v_add_f64_e32 v[107:108], v[63:64], v[97:98]
	v_add_f64_e32 v[73:74], v[73:74], v[95:96]
	v_add_f64_e32 v[109:110], v[81:82], v[97:98]
	v_add_f64_e32 v[69:70], v[83:84], v[95:96]
	v_add_f64_e32 v[71:72], v[85:86], v[97:98]
	v_add_f64_e32 v[57:58], v[99:100], v[105:106]
	v_add_f64_e64 v[59:60], v[107:108], -v[88:89]
	v_add_f64_e32 v[61:62], v[103:104], v[73:74]
	v_add_f64_e64 v[63:64], v[109:110], -v[101:102]
	v_add_f64_e64 v[65:66], v[69:70], -v[92:93]
	v_add_f64_e32 v[67:68], v[90:91], v[71:72]
	v_add_f64_e32 v[69:70], v[92:93], v[69:70]
	v_add_f64_e64 v[71:72], v[71:72], -v[90:91]
	v_add_f64_e64 v[82:83], v[73:74], -v[103:104]
	v_add_f64_e32 v[84:85], v[101:102], v[109:110]
	v_add_f64_e64 v[86:87], v[105:106], -v[99:100]
	v_add_f64_e32 v[88:89], v[88:89], v[107:108]
	v_and_b32_e32 v73, 0xffff, v75
	v_mad_co_u64_u32 v[90:91], null, 0x60, v77, s[10:11]
	s_add_nc_u64 s[10:11], s[8:9], 0x1570
	s_delay_alu instid0(VALU_DEP_2) | instskip(NEXT) | instid1(VALU_DEP_1)
	v_mul_u32_u24_e32 v73, 49, v73
	v_add_nc_u32_e32 v73, v73, v111
	s_delay_alu instid0(VALU_DEP_1)
	v_lshl_add_u32 v81, v73, 4, v52
	ds_store_b128 v81, v[53:56]
	ds_store_b128 v81, v[57:60] offset:112
	ds_store_b128 v81, v[61:64] offset:224
	ds_store_b128 v81, v[65:68] offset:336
	ds_store_b128 v81, v[69:72] offset:448
	ds_store_b128 v81, v[82:85] offset:560
	ds_store_b128 v81, v[86:89] offset:672
	global_wb scope:SCOPE_SE
	s_wait_dscnt 0x0
	s_barrier_signal -1
	s_barrier_wait -1
	global_inv scope:SCOPE_SE
	s_clause 0x5
	global_load_b128 v[56:59], v[90:91], off offset:672
	global_load_b128 v[52:55], v[90:91], off offset:688
	;; [unrolled: 1-line block ×6, first 2 shown]
	ds_load_b128 v[82:85], v78 offset:784
	ds_load_b128 v[86:89], v78 offset:1568
	;; [unrolled: 1-line block ×6, first 2 shown]
	s_wait_loadcnt_dscnt 0x505
	v_mul_f64_e32 v[106:107], v[84:85], v[58:59]
	v_mul_f64_e32 v[108:109], v[82:83], v[58:59]
	s_wait_loadcnt_dscnt 0x404
	v_mul_f64_e32 v[110:111], v[88:89], v[54:55]
	v_mul_f64_e32 v[112:113], v[86:87], v[54:55]
	;; [unrolled: 3-line block ×6, first 2 shown]
	v_fma_f64 v[82:83], v[82:83], v[56:57], -v[106:107]
	v_fma_f64 v[84:85], v[84:85], v[56:57], v[108:109]
	v_fma_f64 v[86:87], v[86:87], v[52:53], -v[110:111]
	v_fma_f64 v[88:89], v[88:89], v[52:53], v[112:113]
	v_fma_f64 v[90:91], v[90:91], v[60:61], -v[114:115]
	v_fma_f64 v[92:93], v[92:93], v[60:61], v[116:117]
	v_fma_f64 v[94:95], v[94:95], v[72:73], -v[118:119]
	v_fma_f64 v[96:97], v[96:97], v[72:73], v[120:121]
	v_fma_f64 v[98:99], v[98:99], v[68:69], -v[122:123]
	v_fma_f64 v[100:101], v[100:101], v[68:69], v[124:125]
	v_fma_f64 v[102:103], v[102:103], v[64:65], -v[126:127]
	v_fma_f64 v[104:105], v[104:105], v[64:65], v[128:129]
	v_add_f64_e32 v[106:107], v[82:83], v[90:91]
	v_add_f64_e32 v[108:109], v[84:85], v[92:93]
	;; [unrolled: 1-line block ×4, first 2 shown]
	v_add_f64_e64 v[86:87], v[86:87], -v[94:95]
	v_add_f64_e64 v[88:89], v[88:89], -v[96:97]
	v_add_f64_e32 v[94:95], v[98:99], v[102:103]
	v_add_f64_e32 v[96:97], v[100:101], v[104:105]
	v_add_f64_e64 v[98:99], v[102:103], -v[98:99]
	v_add_f64_e64 v[100:101], v[104:105], -v[100:101]
	;; [unrolled: 1-line block ×4, first 2 shown]
	v_add_f64_e32 v[82:83], v[110:111], v[106:107]
	v_add_f64_e32 v[84:85], v[112:113], v[108:109]
	v_add_f64_e64 v[102:103], v[106:107], -v[94:95]
	v_add_f64_e64 v[104:105], v[108:109], -v[96:97]
	;; [unrolled: 1-line block ×6, first 2 shown]
	v_add_f64_e32 v[86:87], v[98:99], v[86:87]
	v_add_f64_e32 v[88:89], v[100:101], v[88:89]
	v_add_f64_e64 v[98:99], v[90:91], -v[98:99]
	v_add_f64_e64 v[100:101], v[92:93], -v[100:101]
	;; [unrolled: 1-line block ×4, first 2 shown]
	v_add_f64_e32 v[122:123], v[94:95], v[82:83]
	v_add_f64_e32 v[124:125], v[96:97], v[84:85]
	v_add_f64_e64 v[94:95], v[94:95], -v[110:111]
	v_add_f64_e64 v[96:97], v[96:97], -v[112:113]
	ds_load_b128 v[82:85], v78
	v_mul_f64_e32 v[102:103], s[12:13], v[102:103]
	v_mul_f64_e32 v[104:105], s[12:13], v[104:105]
	;; [unrolled: 1-line block ×6, first 2 shown]
	v_add_f64_e32 v[86:87], v[86:87], v[90:91]
	v_add_f64_e32 v[88:89], v[88:89], v[92:93]
	s_mov_b32 s15, 0x3fe11646
	s_wait_dscnt 0x0
	v_add_f64_e32 v[82:83], v[82:83], v[122:123]
	v_add_f64_e32 v[84:85], v[84:85], v[124:125]
	v_mul_f64_e32 v[110:111], s[16:17], v[94:95]
	v_mul_f64_e32 v[112:113], s[16:17], v[96:97]
	v_fma_f64 v[90:91], v[94:95], s[16:17], v[102:103]
	v_fma_f64 v[92:93], v[96:97], s[16:17], v[104:105]
	;; [unrolled: 1-line block ×4, first 2 shown]
	v_fma_f64 v[114:115], v[118:119], s[30:31], -v[114:115]
	v_fma_f64 v[116:117], v[120:121], s[30:31], -v[116:117]
	v_fma_f64 v[98:99], v[98:99], s[26:27], v[126:127]
	v_fma_f64 v[100:101], v[100:101], s[26:27], v[128:129]
	v_fma_f64 v[102:103], v[106:107], s[22:23], -v[102:103]
	v_fma_f64 v[104:105], v[108:109], s[22:23], -v[104:105]
	v_fma_f64 v[118:119], v[122:123], s[18:19], v[82:83]
	v_fma_f64 v[120:121], v[124:125], s[18:19], v[84:85]
	;; [unrolled: 4-line block ×3, first 2 shown]
	v_fma_f64 v[114:115], v[86:87], s[28:29], v[114:115]
	v_fma_f64 v[116:117], v[88:89], s[28:29], v[116:117]
	;; [unrolled: 1-line block ×4, first 2 shown]
	s_mov_b32 s29, 0xbfdc38aa
	v_add_f64_e32 v[126:127], v[90:91], v[118:119]
	v_add_f64_e32 v[128:129], v[92:93], v[120:121]
	;; [unrolled: 1-line block ×7, first 2 shown]
	v_add_f64_e64 v[88:89], v[128:129], -v[110:111]
	v_add_f64_e32 v[90:91], v[124:125], v[102:103]
	v_add_f64_e64 v[92:93], v[104:105], -v[122:123]
	v_add_f64_e64 v[94:95], v[98:99], -v[116:117]
	v_add_f64_e32 v[96:97], v[114:115], v[100:101]
	v_add_f64_e32 v[98:99], v[116:117], v[98:99]
	v_add_f64_e64 v[100:101], v[100:101], -v[114:115]
	v_add_f64_e64 v[102:103], v[102:103], -v[124:125]
	v_add_f64_e32 v[104:105], v[122:123], v[104:105]
	v_add_f64_e64 v[106:107], v[126:127], -v[112:113]
	v_add_f64_e32 v[108:109], v[110:111], v[128:129]
	ds_store_b128 v78, v[82:85]
	ds_store_b128 v78, v[86:89] offset:784
	ds_store_b128 v78, v[90:93] offset:1568
	;; [unrolled: 1-line block ×6, first 2 shown]
	global_wb scope:SCOPE_SE
	s_wait_dscnt 0x0
	s_barrier_signal -1
	s_barrier_wait -1
	global_inv scope:SCOPE_SE
	s_clause 0x6
	global_load_b128 v[82:85], v79, s[8:9] offset:5488
	global_load_b128 v[86:89], v79, s[10:11] offset:784
	;; [unrolled: 1-line block ×7, first 2 shown]
	ds_load_b128 v[110:113], v78
	ds_load_b128 v[114:117], v78 offset:784
	ds_load_b128 v[118:121], v78 offset:1568
	ds_load_b128 v[122:125], v78 offset:2352
	ds_load_b128 v[126:129], v78 offset:3136
	ds_load_b128 v[130:133], v78 offset:3920
	ds_load_b128 v[134:137], v78 offset:4704
	s_wait_loadcnt_dscnt 0x606
	v_mul_f64_e32 v[138:139], v[112:113], v[84:85]
	v_mul_f64_e32 v[84:85], v[110:111], v[84:85]
	s_wait_loadcnt_dscnt 0x505
	v_mul_f64_e32 v[140:141], v[116:117], v[88:89]
	v_mul_f64_e32 v[88:89], v[114:115], v[88:89]
	;; [unrolled: 3-line block ×7, first 2 shown]
	v_fma_f64 v[108:109], v[110:111], v[82:83], -v[138:139]
	v_fma_f64 v[110:111], v[112:113], v[82:83], v[84:85]
	v_fma_f64 v[82:83], v[114:115], v[86:87], -v[140:141]
	v_fma_f64 v[84:85], v[116:117], v[86:87], v[88:89]
	;; [unrolled: 2-line block ×7, first 2 shown]
	ds_store_b128 v78, v[108:111]
	ds_store_b128 v78, v[82:85] offset:784
	ds_store_b128 v78, v[86:89] offset:1568
	;; [unrolled: 1-line block ×6, first 2 shown]
	global_wb scope:SCOPE_SE
	s_wait_dscnt 0x0
	s_barrier_signal -1
	s_barrier_wait -1
	global_inv scope:SCOPE_SE
	ds_load_b128 v[82:85], v78 offset:784
	ds_load_b128 v[86:89], v78 offset:4704
	;; [unrolled: 1-line block ×6, first 2 shown]
	s_wait_dscnt 0x4
	v_add_f64_e32 v[106:107], v[82:83], v[86:87]
	v_add_f64_e32 v[108:109], v[84:85], v[88:89]
	s_wait_dscnt 0x2
	v_add_f64_e32 v[110:111], v[94:95], v[90:91]
	v_add_f64_e32 v[112:113], v[96:97], v[92:93]
	v_add_f64_e64 v[90:91], v[94:95], -v[90:91]
	v_add_f64_e64 v[92:93], v[96:97], -v[92:93]
	s_wait_dscnt 0x0
	v_add_f64_e32 v[94:95], v[98:99], v[102:103]
	v_add_f64_e32 v[96:97], v[100:101], v[104:105]
	v_add_f64_e64 v[98:99], v[102:103], -v[98:99]
	v_add_f64_e64 v[100:101], v[104:105], -v[100:101]
	;; [unrolled: 1-line block ×4, first 2 shown]
	v_add_f64_e32 v[82:83], v[110:111], v[106:107]
	v_add_f64_e32 v[84:85], v[112:113], v[108:109]
	v_add_f64_e64 v[102:103], v[106:107], -v[94:95]
	v_add_f64_e64 v[104:105], v[108:109], -v[96:97]
	;; [unrolled: 1-line block ×6, first 2 shown]
	v_add_f64_e32 v[90:91], v[98:99], v[90:91]
	v_add_f64_e32 v[92:93], v[100:101], v[92:93]
	v_add_f64_e64 v[98:99], v[86:87], -v[98:99]
	v_add_f64_e64 v[100:101], v[88:89], -v[100:101]
	;; [unrolled: 1-line block ×4, first 2 shown]
	v_add_f64_e32 v[122:123], v[94:95], v[82:83]
	v_add_f64_e32 v[124:125], v[96:97], v[84:85]
	v_add_f64_e64 v[94:95], v[94:95], -v[110:111]
	v_add_f64_e64 v[96:97], v[96:97], -v[112:113]
	ds_load_b128 v[82:85], v78
	v_mul_f64_e32 v[102:103], s[12:13], v[102:103]
	v_mul_f64_e32 v[104:105], s[12:13], v[104:105]
	s_wait_alu 0xfffe
	v_mul_f64_e32 v[114:115], s[14:15], v[114:115]
	v_mul_f64_e32 v[116:117], s[14:15], v[116:117]
	;; [unrolled: 1-line block ×4, first 2 shown]
	v_add_f64_e32 v[86:87], v[90:91], v[86:87]
	v_add_f64_e32 v[88:89], v[92:93], v[88:89]
	global_wb scope:SCOPE_SE
	s_wait_dscnt 0x0
	s_barrier_signal -1
	s_barrier_wait -1
	global_inv scope:SCOPE_SE
	v_add_f64_e32 v[82:83], v[82:83], v[122:123]
	v_add_f64_e32 v[84:85], v[84:85], v[124:125]
	v_mul_f64_e32 v[110:111], s[16:17], v[94:95]
	v_mul_f64_e32 v[112:113], s[16:17], v[96:97]
	v_fma_f64 v[90:91], v[94:95], s[16:17], v[102:103]
	v_fma_f64 v[92:93], v[96:97], s[16:17], v[104:105]
	;; [unrolled: 1-line block ×4, first 2 shown]
	v_fma_f64 v[114:115], v[118:119], s[2:3], -v[114:115]
	v_fma_f64 v[116:117], v[120:121], s[2:3], -v[116:117]
	v_fma_f64 v[98:99], v[98:99], s[24:25], v[126:127]
	v_fma_f64 v[100:101], v[100:101], s[24:25], v[128:129]
	v_fma_f64 v[102:103], v[106:107], s[22:23], -v[102:103]
	v_fma_f64 v[104:105], v[108:109], s[22:23], -v[104:105]
	v_fma_f64 v[118:119], v[122:123], s[18:19], v[82:83]
	v_fma_f64 v[120:121], v[124:125], s[18:19], v[84:85]
	;; [unrolled: 4-line block ×3, first 2 shown]
	v_fma_f64 v[114:115], v[86:87], s[28:29], v[114:115]
	v_fma_f64 v[116:117], v[88:89], s[28:29], v[116:117]
	;; [unrolled: 1-line block ×4, first 2 shown]
	v_add_f64_e32 v[126:127], v[90:91], v[118:119]
	v_add_f64_e32 v[128:129], v[92:93], v[120:121]
	v_add_f64_e32 v[102:103], v[102:103], v[118:119]
	v_add_f64_e32 v[104:105], v[104:105], v[120:121]
	v_add_f64_e32 v[98:99], v[106:107], v[118:119]
	v_add_f64_e32 v[100:101], v[108:109], v[120:121]
	v_add_f64_e32 v[86:87], v[126:127], v[112:113]
	v_add_f64_e64 v[88:89], v[128:129], -v[110:111]
	v_add_f64_e32 v[90:91], v[102:103], v[124:125]
	v_add_f64_e64 v[92:93], v[104:105], -v[122:123]
	v_add_f64_e64 v[94:95], v[98:99], -v[116:117]
	v_add_f64_e32 v[96:97], v[114:115], v[100:101]
	v_add_f64_e32 v[98:99], v[98:99], v[116:117]
	v_add_f64_e64 v[100:101], v[100:101], -v[114:115]
	v_add_f64_e64 v[102:103], v[102:103], -v[124:125]
	v_add_f64_e32 v[104:105], v[122:123], v[104:105]
	v_add_f64_e64 v[106:107], v[126:127], -v[112:113]
	v_add_f64_e32 v[108:109], v[110:111], v[128:129]
	ds_store_b128 v80, v[82:85]
	ds_store_b128 v80, v[86:89] offset:16
	ds_store_b128 v80, v[90:93] offset:32
	ds_store_b128 v80, v[94:97] offset:48
	ds_store_b128 v80, v[98:101] offset:64
	ds_store_b128 v80, v[102:105] offset:80
	ds_store_b128 v80, v[106:109] offset:96
	global_wb scope:SCOPE_SE
	s_wait_dscnt 0x0
	s_barrier_signal -1
	s_barrier_wait -1
	global_inv scope:SCOPE_SE
	ds_load_b128 v[82:85], v78 offset:784
	ds_load_b128 v[86:89], v78 offset:1568
	;; [unrolled: 1-line block ×6, first 2 shown]
	s_wait_dscnt 0x5
	v_mul_f64_e32 v[79:80], v[34:35], v[84:85]
	v_mul_f64_e32 v[34:35], v[34:35], v[82:83]
	s_wait_dscnt 0x4
	v_mul_f64_e32 v[106:107], v[30:31], v[88:89]
	v_mul_f64_e32 v[30:31], v[30:31], v[86:87]
	;; [unrolled: 3-line block ×6, first 2 shown]
	v_fma_f64 v[79:80], v[32:33], v[82:83], v[79:80]
	v_fma_f64 v[32:33], v[32:33], v[84:85], -v[34:35]
	v_fma_f64 v[34:35], v[28:29], v[86:87], v[106:107]
	v_fma_f64 v[28:29], v[28:29], v[88:89], -v[30:31]
	;; [unrolled: 2-line block ×6, first 2 shown]
	v_add_f64_e32 v[42:43], v[79:80], v[30:31]
	v_add_f64_e32 v[82:83], v[32:33], v[36:37]
	;; [unrolled: 1-line block ×4, first 2 shown]
	v_add_f64_e64 v[34:35], v[34:35], -v[38:39]
	v_add_f64_e64 v[38:39], v[28:29], -v[48:49]
	v_add_f64_e32 v[28:29], v[50:51], v[46:47]
	v_add_f64_e32 v[48:49], v[44:45], v[40:41]
	v_add_f64_e64 v[46:47], v[46:47], -v[50:51]
	v_add_f64_e64 v[40:41], v[40:41], -v[44:45]
	;; [unrolled: 1-line block ×4, first 2 shown]
	v_add_f64_e32 v[30:31], v[84:85], v[42:43]
	v_add_f64_e32 v[36:37], v[86:87], v[82:83]
	v_add_f64_e64 v[50:51], v[42:43], -v[28:29]
	v_add_f64_e64 v[79:80], v[82:83], -v[48:49]
	;; [unrolled: 1-line block ×7, first 2 shown]
	v_add_f64_e32 v[34:35], v[46:47], v[34:35]
	v_add_f64_e32 v[38:39], v[40:41], v[38:39]
	v_add_f64_e64 v[46:47], v[44:45], -v[46:47]
	v_add_f64_e64 v[40:41], v[32:33], -v[40:41]
	;; [unrolled: 1-line block ×4, first 2 shown]
	v_add_f64_e32 v[96:97], v[28:29], v[30:31]
	v_add_f64_e32 v[36:37], v[48:49], v[36:37]
	v_add_f64_e64 v[48:49], v[48:49], -v[86:87]
	ds_load_b128 v[28:31], v78
	v_mul_f64_e32 v[50:51], s[12:13], v[50:51]
	v_mul_f64_e32 v[79:80], s[12:13], v[79:80]
	;; [unrolled: 1-line block ×7, first 2 shown]
	v_add_f64_e32 v[34:35], v[34:35], v[44:45]
	v_add_f64_e32 v[32:33], v[38:39], v[32:33]
	global_wb scope:SCOPE_SE
	s_wait_dscnt 0x0
	s_barrier_signal -1
	s_barrier_wait -1
	global_inv scope:SCOPE_SE
	v_add_f64_e32 v[28:29], v[28:29], v[96:97]
	v_add_f64_e32 v[30:31], v[30:31], v[36:37]
	v_mul_f64_e32 v[86:87], s[16:17], v[48:49]
	v_fma_f64 v[38:39], v[98:99], s[16:17], v[50:51]
	v_fma_f64 v[44:45], v[48:49], s[16:17], v[79:80]
	v_fma_f64 v[48:49], v[46:47], s[26:27], v[88:89]
	v_fma_f64 v[98:99], v[40:41], s[26:27], v[90:91]
	v_fma_f64 v[88:89], v[92:93], s[2:3], -v[88:89]
	v_fma_f64 v[90:91], v[94:95], s[2:3], -v[90:91]
	v_fma_f64 v[46:47], v[46:47], s[24:25], v[100:101]
	v_fma_f64 v[40:41], v[40:41], s[24:25], v[102:103]
	v_fma_f64 v[50:51], v[42:43], s[22:23], -v[50:51]
	v_fma_f64 v[79:80], v[82:83], s[22:23], -v[79:80]
	;; [unrolled: 1-line block ×3, first 2 shown]
	v_fma_f64 v[92:93], v[96:97], s[18:19], v[28:29]
	v_fma_f64 v[36:37], v[36:37], s[18:19], v[30:31]
	v_fma_f64 v[82:83], v[82:83], s[20:21], -v[86:87]
	v_fma_f64 v[84:85], v[34:35], s[28:29], v[48:49]
	v_fma_f64 v[86:87], v[32:33], s[28:29], v[98:99]
	;; [unrolled: 1-line block ×6, first 2 shown]
	v_add_f64_e32 v[96:97], v[38:39], v[92:93]
	v_add_f64_e32 v[98:99], v[44:45], v[36:37]
	;; [unrolled: 1-line block ×7, first 2 shown]
	v_add_f64_e64 v[34:35], v[98:99], -v[84:85]
	v_add_f64_e32 v[36:37], v[94:95], v[50:51]
	v_add_f64_e64 v[38:39], v[79:80], -v[90:91]
	v_add_f64_e64 v[40:41], v[44:45], -v[88:89]
	v_add_f64_e32 v[42:43], v[48:49], v[46:47]
	v_add_f64_e32 v[44:45], v[88:89], v[44:45]
	v_add_f64_e64 v[46:47], v[46:47], -v[48:49]
	v_add_f64_e64 v[48:49], v[50:51], -v[94:95]
	v_add_f64_e32 v[50:51], v[90:91], v[79:80]
	v_add_f64_e64 v[82:83], v[96:97], -v[86:87]
	v_add_f64_e32 v[84:85], v[84:85], v[98:99]
	ds_store_b128 v81, v[28:31]
	ds_store_b128 v81, v[32:35] offset:112
	ds_store_b128 v81, v[36:39] offset:224
	;; [unrolled: 1-line block ×6, first 2 shown]
	global_wb scope:SCOPE_SE
	s_wait_dscnt 0x0
	s_barrier_signal -1
	s_barrier_wait -1
	global_inv scope:SCOPE_SE
	ds_load_b128 v[28:31], v78 offset:784
	ds_load_b128 v[32:35], v78 offset:1568
	;; [unrolled: 1-line block ×6, first 2 shown]
	s_wait_dscnt 0x5
	v_mul_f64_e32 v[79:80], v[58:59], v[30:31]
	v_mul_f64_e32 v[58:59], v[58:59], v[28:29]
	s_wait_dscnt 0x4
	v_mul_f64_e32 v[81:82], v[54:55], v[34:35]
	v_mul_f64_e32 v[54:55], v[54:55], v[32:33]
	;; [unrolled: 3-line block ×6, first 2 shown]
	v_fma_f64 v[28:29], v[56:57], v[28:29], v[79:80]
	v_fma_f64 v[30:31], v[56:57], v[30:31], -v[58:59]
	v_fma_f64 v[32:33], v[52:53], v[32:33], v[81:82]
	v_fma_f64 v[34:35], v[52:53], v[34:35], -v[54:55]
	;; [unrolled: 2-line block ×6, first 2 shown]
	v_add_f64_e32 v[52:53], v[28:29], v[36:37]
	v_add_f64_e32 v[54:55], v[30:31], v[38:39]
	;; [unrolled: 1-line block ×4, first 2 shown]
	v_add_f64_e64 v[32:33], v[32:33], -v[40:41]
	v_add_f64_e64 v[34:35], v[34:35], -v[42:43]
	v_add_f64_e32 v[40:41], v[44:45], v[48:49]
	v_add_f64_e32 v[42:43], v[46:47], v[50:51]
	v_add_f64_e64 v[44:45], v[48:49], -v[44:45]
	v_add_f64_e64 v[46:47], v[50:51], -v[46:47]
	;; [unrolled: 1-line block ×4, first 2 shown]
	v_add_f64_e32 v[28:29], v[56:57], v[52:53]
	v_add_f64_e32 v[30:31], v[58:59], v[54:55]
	v_add_f64_e64 v[48:49], v[52:53], -v[40:41]
	v_add_f64_e64 v[50:51], v[54:55], -v[42:43]
	;; [unrolled: 1-line block ×6, first 2 shown]
	v_add_f64_e32 v[32:33], v[44:45], v[32:33]
	v_add_f64_e32 v[34:35], v[46:47], v[34:35]
	v_add_f64_e64 v[44:45], v[36:37], -v[44:45]
	v_add_f64_e64 v[46:47], v[38:39], -v[46:47]
	v_add_f64_e64 v[52:53], v[56:57], -v[52:53]
	v_add_f64_e64 v[54:55], v[58:59], -v[54:55]
	v_add_f64_e32 v[68:69], v[40:41], v[28:29]
	v_add_f64_e32 v[70:71], v[42:43], v[30:31]
	v_add_f64_e64 v[40:41], v[40:41], -v[56:57]
	v_add_f64_e64 v[42:43], v[42:43], -v[58:59]
	ds_load_b128 v[28:31], v78
	v_mul_f64_e32 v[48:49], s[12:13], v[48:49]
	v_mul_f64_e32 v[50:51], s[12:13], v[50:51]
	;; [unrolled: 1-line block ×6, first 2 shown]
	v_add_f64_e32 v[32:33], v[32:33], v[36:37]
	v_add_f64_e32 v[34:35], v[34:35], v[38:39]
	s_wait_dscnt 0x0
	v_add_f64_e32 v[28:29], v[28:29], v[68:69]
	v_add_f64_e32 v[30:31], v[30:31], v[70:71]
	v_mul_f64_e32 v[56:57], s[16:17], v[40:41]
	v_mul_f64_e32 v[58:59], s[16:17], v[42:43]
	v_fma_f64 v[36:37], v[40:41], s[16:17], v[48:49]
	v_fma_f64 v[38:39], v[42:43], s[16:17], v[50:51]
	;; [unrolled: 1-line block ×4, first 2 shown]
	v_fma_f64 v[60:61], v[64:65], s[2:3], -v[60:61]
	v_fma_f64 v[62:63], v[66:67], s[2:3], -v[62:63]
	v_fma_f64 v[44:45], v[44:45], s[24:25], v[72:73]
	v_fma_f64 v[46:47], v[46:47], s[24:25], v[74:75]
	v_fma_f64 v[48:49], v[52:53], s[22:23], -v[48:49]
	v_fma_f64 v[50:51], v[54:55], s[22:23], -v[50:51]
	s_mov_b32 s2, 0x515a4f1d
	s_mov_b32 s3, 0x3f67e225
	v_fma_f64 v[64:65], v[68:69], s[18:19], v[28:29]
	v_fma_f64 v[66:67], v[70:71], s[18:19], v[30:31]
	v_fma_f64 v[52:53], v[52:53], s[20:21], -v[56:57]
	v_fma_f64 v[54:55], v[54:55], s[20:21], -v[58:59]
	v_fma_f64 v[56:57], v[32:33], s[28:29], v[40:41]
	v_fma_f64 v[58:59], v[34:35], s[28:29], v[42:43]
	;; [unrolled: 1-line block ×6, first 2 shown]
	v_add_f64_e32 v[72:73], v[36:37], v[64:65]
	v_add_f64_e32 v[74:75], v[38:39], v[66:67]
	;; [unrolled: 1-line block ×7, first 2 shown]
	v_add_f64_e64 v[34:35], v[74:75], -v[56:57]
	v_add_f64_e32 v[36:37], v[70:71], v[48:49]
	v_add_f64_e64 v[38:39], v[50:51], -v[68:69]
	v_add_f64_e64 v[40:41], v[44:45], -v[62:63]
	v_add_f64_e32 v[42:43], v[60:61], v[46:47]
	v_add_f64_e32 v[44:45], v[62:63], v[44:45]
	v_add_f64_e64 v[46:47], v[46:47], -v[60:61]
	v_add_f64_e64 v[48:49], v[48:49], -v[70:71]
	v_add_f64_e32 v[50:51], v[68:69], v[50:51]
	v_add_f64_e64 v[52:53], v[72:73], -v[58:59]
	v_add_f64_e32 v[54:55], v[56:57], v[74:75]
	ds_store_b128 v78, v[28:31]
	ds_store_b128 v78, v[32:35] offset:784
	ds_store_b128 v78, v[36:39] offset:1568
	;; [unrolled: 1-line block ×6, first 2 shown]
	global_wb scope:SCOPE_SE
	s_wait_dscnt 0x0
	s_barrier_signal -1
	s_barrier_wait -1
	global_inv scope:SCOPE_SE
	ds_load_b128 v[28:31], v78
	ds_load_b128 v[32:35], v78 offset:784
	ds_load_b128 v[36:39], v78 offset:1568
	;; [unrolled: 1-line block ×6, first 2 shown]
	v_mad_co_u64_u32 v[70:71], null, s6, v76, 0
	v_mad_co_u64_u32 v[72:73], null, s4, v77, 0
	s_wait_dscnt 0x6
	v_mul_f64_e32 v[56:57], v[2:3], v[30:31]
	v_mul_f64_e32 v[2:3], v[2:3], v[28:29]
	s_wait_dscnt 0x5
	v_mul_f64_e32 v[58:59], v[6:7], v[34:35]
	v_mul_f64_e32 v[6:7], v[6:7], v[32:33]
	;; [unrolled: 3-line block ×7, first 2 shown]
	v_fma_f64 v[28:29], v[0:1], v[28:29], v[56:57]
	v_fma_f64 v[2:3], v[0:1], v[30:31], -v[2:3]
	v_fma_f64 v[30:31], v[4:5], v[32:33], v[58:59]
	v_fma_f64 v[6:7], v[4:5], v[34:35], -v[6:7]
	v_fma_f64 v[32:33], v[8:9], v[36:37], v[60:61]
	v_fma_f64 v[10:11], v[8:9], v[38:39], -v[10:11]
	v_fma_f64 v[34:35], v[12:13], v[40:41], v[62:63]
	v_fma_f64 v[14:15], v[12:13], v[42:43], -v[14:15]
	v_fma_f64 v[36:37], v[20:21], v[44:45], v[64:65]
	v_fma_f64 v[20:21], v[20:21], v[46:47], -v[22:23]
	v_fma_f64 v[22:23], v[16:17], v[48:49], v[66:67]
	v_fma_f64 v[38:39], v[16:17], v[50:51], -v[18:19]
	v_fma_f64 v[40:41], v[24:25], v[52:53], v[68:69]
	v_fma_f64 v[26:27], v[24:25], v[54:55], -v[26:27]
	v_mov_b32_e32 v0, v73
	v_mad_co_u64_u32 v[4:5], null, s7, v76, v[71:72]
	s_delay_alu instid0(VALU_DEP_2) | instskip(NEXT) | instid1(VALU_DEP_2)
	v_mad_co_u64_u32 v[0:1], null, s5, v77, v[0:1]
	v_mov_b32_e32 v71, v4
	s_delay_alu instid0(VALU_DEP_2) | instskip(NEXT) | instid1(VALU_DEP_2)
	v_mov_b32_e32 v73, v0
	v_lshlrev_b64_e32 v[0:1], 4, v[70:71]
	s_delay_alu instid0(VALU_DEP_2) | instskip(NEXT) | instid1(VALU_DEP_2)
	v_lshlrev_b64_e32 v[42:43], 4, v[72:73]
	v_add_co_u32 v44, vcc_lo, s0, v0
	s_wait_alu 0xfffd
	s_delay_alu instid0(VALU_DEP_3)
	v_add_co_ci_u32_e32 v45, vcc_lo, s1, v1, vcc_lo
	s_wait_alu 0xfffe
	v_mul_f64_e32 v[0:1], s[2:3], v[28:29]
	v_mul_f64_e32 v[2:3], s[2:3], v[2:3]
	v_mul_f64_e32 v[4:5], s[2:3], v[30:31]
	v_mul_f64_e32 v[6:7], s[2:3], v[6:7]
	v_mul_f64_e32 v[8:9], s[2:3], v[32:33]
	v_mul_f64_e32 v[10:11], s[2:3], v[10:11]
	v_mul_f64_e32 v[12:13], s[2:3], v[34:35]
	v_mul_f64_e32 v[14:15], s[2:3], v[14:15]
	v_mul_f64_e32 v[16:17], s[2:3], v[36:37]
	v_mul_f64_e32 v[18:19], s[2:3], v[20:21]
	v_mul_f64_e32 v[20:21], s[2:3], v[22:23]
	v_mul_f64_e32 v[22:23], s[2:3], v[38:39]
	v_mul_f64_e32 v[24:25], s[2:3], v[40:41]
	v_mul_f64_e32 v[26:27], s[2:3], v[26:27]
	v_add_co_u32 v28, vcc_lo, v44, v42
	s_wait_alu 0xfffd
	v_add_co_ci_u32_e32 v29, vcc_lo, v45, v43, vcc_lo
	s_mul_u64 s[0:1], s[4:5], 0x310
	s_wait_alu 0xfffe
	v_add_co_u32 v30, vcc_lo, v28, s0
	s_wait_alu 0xfffd
	v_add_co_ci_u32_e32 v31, vcc_lo, s1, v29, vcc_lo
	s_delay_alu instid0(VALU_DEP_2) | instskip(SKIP_1) | instid1(VALU_DEP_2)
	v_add_co_u32 v32, vcc_lo, v30, s0
	s_wait_alu 0xfffd
	v_add_co_ci_u32_e32 v33, vcc_lo, s1, v31, vcc_lo
	s_delay_alu instid0(VALU_DEP_2) | instskip(SKIP_1) | instid1(VALU_DEP_2)
	;; [unrolled: 4-line block ×5, first 2 shown]
	v_add_co_u32 v40, vcc_lo, v38, s0
	s_wait_alu 0xfffd
	v_add_co_ci_u32_e32 v41, vcc_lo, s1, v39, vcc_lo
	s_clause 0x4
	global_store_b128 v[28:29], v[0:3], off
	global_store_b128 v[30:31], v[4:7], off
	;; [unrolled: 1-line block ×7, first 2 shown]
.LBB0_2:
	s_nop 0
	s_sendmsg sendmsg(MSG_DEALLOC_VGPRS)
	s_endpgm
	.section	.rodata,"a",@progbits
	.p2align	6, 0x0
	.amdhsa_kernel bluestein_single_fwd_len343_dim1_dp_op_CI_CI
		.amdhsa_group_segment_fixed_size 27440
		.amdhsa_private_segment_fixed_size 0
		.amdhsa_kernarg_size 104
		.amdhsa_user_sgpr_count 2
		.amdhsa_user_sgpr_dispatch_ptr 0
		.amdhsa_user_sgpr_queue_ptr 0
		.amdhsa_user_sgpr_kernarg_segment_ptr 1
		.amdhsa_user_sgpr_dispatch_id 0
		.amdhsa_user_sgpr_private_segment_size 0
		.amdhsa_wavefront_size32 1
		.amdhsa_uses_dynamic_stack 0
		.amdhsa_enable_private_segment 0
		.amdhsa_system_sgpr_workgroup_id_x 1
		.amdhsa_system_sgpr_workgroup_id_y 0
		.amdhsa_system_sgpr_workgroup_id_z 0
		.amdhsa_system_sgpr_workgroup_info 0
		.amdhsa_system_vgpr_workitem_id 0
		.amdhsa_next_free_vgpr 154
		.amdhsa_next_free_sgpr 32
		.amdhsa_reserve_vcc 1
		.amdhsa_float_round_mode_32 0
		.amdhsa_float_round_mode_16_64 0
		.amdhsa_float_denorm_mode_32 3
		.amdhsa_float_denorm_mode_16_64 3
		.amdhsa_fp16_overflow 0
		.amdhsa_workgroup_processor_mode 1
		.amdhsa_memory_ordered 1
		.amdhsa_forward_progress 0
		.amdhsa_round_robin_scheduling 0
		.amdhsa_exception_fp_ieee_invalid_op 0
		.amdhsa_exception_fp_denorm_src 0
		.amdhsa_exception_fp_ieee_div_zero 0
		.amdhsa_exception_fp_ieee_overflow 0
		.amdhsa_exception_fp_ieee_underflow 0
		.amdhsa_exception_fp_ieee_inexact 0
		.amdhsa_exception_int_div_zero 0
	.end_amdhsa_kernel
	.text
.Lfunc_end0:
	.size	bluestein_single_fwd_len343_dim1_dp_op_CI_CI, .Lfunc_end0-bluestein_single_fwd_len343_dim1_dp_op_CI_CI
                                        ; -- End function
	.section	.AMDGPU.csdata,"",@progbits
; Kernel info:
; codeLenInByte = 7212
; NumSgprs: 34
; NumVgprs: 154
; ScratchSize: 0
; MemoryBound: 0
; FloatMode: 240
; IeeeMode: 1
; LDSByteSize: 27440 bytes/workgroup (compile time only)
; SGPRBlocks: 4
; VGPRBlocks: 19
; NumSGPRsForWavesPerEU: 34
; NumVGPRsForWavesPerEU: 154
; Occupancy: 8
; WaveLimiterHint : 1
; COMPUTE_PGM_RSRC2:SCRATCH_EN: 0
; COMPUTE_PGM_RSRC2:USER_SGPR: 2
; COMPUTE_PGM_RSRC2:TRAP_HANDLER: 0
; COMPUTE_PGM_RSRC2:TGID_X_EN: 1
; COMPUTE_PGM_RSRC2:TGID_Y_EN: 0
; COMPUTE_PGM_RSRC2:TGID_Z_EN: 0
; COMPUTE_PGM_RSRC2:TIDIG_COMP_CNT: 0
	.text
	.p2alignl 7, 3214868480
	.fill 96, 4, 3214868480
	.type	__hip_cuid_429b6ac8fa51e3f0,@object ; @__hip_cuid_429b6ac8fa51e3f0
	.section	.bss,"aw",@nobits
	.globl	__hip_cuid_429b6ac8fa51e3f0
__hip_cuid_429b6ac8fa51e3f0:
	.byte	0                               ; 0x0
	.size	__hip_cuid_429b6ac8fa51e3f0, 1

	.ident	"AMD clang version 19.0.0git (https://github.com/RadeonOpenCompute/llvm-project roc-6.4.0 25133 c7fe45cf4b819c5991fe208aaa96edf142730f1d)"
	.section	".note.GNU-stack","",@progbits
	.addrsig
	.addrsig_sym __hip_cuid_429b6ac8fa51e3f0
	.amdgpu_metadata
---
amdhsa.kernels:
  - .args:
      - .actual_access:  read_only
        .address_space:  global
        .offset:         0
        .size:           8
        .value_kind:     global_buffer
      - .actual_access:  read_only
        .address_space:  global
        .offset:         8
        .size:           8
        .value_kind:     global_buffer
      - .actual_access:  read_only
        .address_space:  global
        .offset:         16
        .size:           8
        .value_kind:     global_buffer
      - .actual_access:  read_only
        .address_space:  global
        .offset:         24
        .size:           8
        .value_kind:     global_buffer
      - .actual_access:  read_only
        .address_space:  global
        .offset:         32
        .size:           8
        .value_kind:     global_buffer
      - .offset:         40
        .size:           8
        .value_kind:     by_value
      - .address_space:  global
        .offset:         48
        .size:           8
        .value_kind:     global_buffer
      - .address_space:  global
        .offset:         56
        .size:           8
        .value_kind:     global_buffer
      - .address_space:  global
        .offset:         64
        .size:           8
        .value_kind:     global_buffer
      - .address_space:  global
        .offset:         72
        .size:           8
        .value_kind:     global_buffer
      - .offset:         80
        .size:           4
        .value_kind:     by_value
      - .address_space:  global
        .offset:         88
        .size:           8
        .value_kind:     global_buffer
      - .address_space:  global
        .offset:         96
        .size:           8
        .value_kind:     global_buffer
    .group_segment_fixed_size: 27440
    .kernarg_segment_align: 8
    .kernarg_segment_size: 104
    .language:       OpenCL C
    .language_version:
      - 2
      - 0
    .max_flat_workgroup_size: 245
    .name:           bluestein_single_fwd_len343_dim1_dp_op_CI_CI
    .private_segment_fixed_size: 0
    .sgpr_count:     34
    .sgpr_spill_count: 0
    .symbol:         bluestein_single_fwd_len343_dim1_dp_op_CI_CI.kd
    .uniform_work_group_size: 1
    .uses_dynamic_stack: false
    .vgpr_count:     154
    .vgpr_spill_count: 0
    .wavefront_size: 32
    .workgroup_processor_mode: 1
amdhsa.target:   amdgcn-amd-amdhsa--gfx1201
amdhsa.version:
  - 1
  - 2
...

	.end_amdgpu_metadata
